;; amdgpu-corpus repo=ROCm/rocFFT kind=compiled arch=gfx1030 opt=O3
	.text
	.amdgcn_target "amdgcn-amd-amdhsa--gfx1030"
	.amdhsa_code_object_version 6
	.protected	fft_rtc_fwd_len100_factors_5_5_4_wgs_200_tpt_25_halfLds_dp_op_CI_CI_sbcc_dirReg ; -- Begin function fft_rtc_fwd_len100_factors_5_5_4_wgs_200_tpt_25_halfLds_dp_op_CI_CI_sbcc_dirReg
	.globl	fft_rtc_fwd_len100_factors_5_5_4_wgs_200_tpt_25_halfLds_dp_op_CI_CI_sbcc_dirReg
	.p2align	8
	.type	fft_rtc_fwd_len100_factors_5_5_4_wgs_200_tpt_25_halfLds_dp_op_CI_CI_sbcc_dirReg,@function
fft_rtc_fwd_len100_factors_5_5_4_wgs_200_tpt_25_halfLds_dp_op_CI_CI_sbcc_dirReg: ; @fft_rtc_fwd_len100_factors_5_5_4_wgs_200_tpt_25_halfLds_dp_op_CI_CI_sbcc_dirReg
; %bb.0:
	s_clause 0x1
	s_load_dwordx4 s[0:3], s[4:5], 0x18
	s_load_dwordx2 s[26:27], s[4:5], 0x28
	s_mov_b32 s7, 0
	s_mov_b64 s[20:21], 0
	s_waitcnt lgkmcnt(0)
	s_load_dwordx2 s[22:23], s[0:1], 0x8
	s_waitcnt lgkmcnt(0)
	s_add_u32 s8, s22, -1
	s_addc_u32 s9, s23, -1
	s_lshr_b64 s[8:9], s[8:9], 3
	s_add_u32 s28, s8, 1
	s_addc_u32 s29, s9, 0
	v_cmp_lt_u64_e64 s8, s[6:7], s[28:29]
	s_and_b32 vcc_lo, exec_lo, s8
	s_cbranch_vccnz .LBB0_2
; %bb.1:
	v_cvt_f32_u32_e32 v1, s28
	s_sub_i32 s9, 0, s28
	s_mov_b32 s21, s7
	v_rcp_iflag_f32_e32 v1, v1
	v_mul_f32_e32 v1, 0x4f7ffffe, v1
	v_cvt_u32_f32_e32 v1, v1
	v_readfirstlane_b32 s8, v1
	s_mul_i32 s9, s9, s8
	s_mul_hi_u32 s9, s8, s9
	s_add_i32 s8, s8, s9
	s_mul_hi_u32 s8, s6, s8
	s_mul_i32 s9, s8, s28
	s_add_i32 s10, s8, 1
	s_sub_i32 s9, s6, s9
	s_sub_i32 s11, s9, s28
	s_cmp_ge_u32 s9, s28
	s_cselect_b32 s8, s10, s8
	s_cselect_b32 s9, s11, s9
	s_add_i32 s10, s8, 1
	s_cmp_ge_u32 s9, s28
	s_cselect_b32 s20, s10, s8
.LBB0_2:
	s_load_dwordx4 s[16:19], s[2:3], 0x0
	s_load_dwordx4 s[8:11], s[26:27], 0x0
	s_load_dwordx2 s[30:31], s[4:5], 0x10
	s_mul_i32 s12, s20, s29
	s_mul_hi_u32 s13, s20, s28
	s_mul_i32 s14, s20, s28
	s_add_i32 s13, s13, s12
	s_sub_u32 s34, s6, s14
	s_subb_u32 s35, 0, s13
	s_clause 0x1
	s_load_dwordx2 s[24:25], s[4:5], 0x0
	s_load_dwordx4 s[12:15], s[4:5], 0x60
	v_alignbit_b32 v1, s35, s34, 29
	s_lshl_b64 s[4:5], s[34:35], 3
	s_waitcnt lgkmcnt(0)
	v_mul_lo_u32 v2, s18, v1
	v_mul_lo_u32 v1, s10, v1
	s_mul_hi_u32 s33, s18, s4
	s_mul_hi_u32 s36, s10, s4
	v_cmp_lt_u64_e64 s38, s[30:31], 3
	s_mul_i32 s34, s19, s4
	s_mul_i32 s35, s18, s4
	;; [unrolled: 1-line block ×3, first 2 shown]
	v_add_nc_u32_e32 v2, s33, v2
	v_add_nc_u32_e32 v3, s36, v1
	s_mul_i32 s33, s10, s4
	v_mov_b32_e32 v1, s35
	v_mov_b32_e32 v29, s33
	v_add_nc_u32_e32 v2, s34, v2
	v_add_nc_u32_e32 v30, s37, v3
	s_and_b32 vcc_lo, exec_lo, s38
	s_cbranch_vccnz .LBB0_11
; %bb.3:
	s_add_u32 s34, s26, 16
	s_addc_u32 s35, s27, 0
	s_add_u32 s36, s2, 16
	s_addc_u32 s37, s3, 0
	;; [unrolled: 2-line block ×3, first 2 shown]
	s_mov_b64 s[38:39], 2
	s_mov_b32 s40, 0
	s_branch .LBB0_5
.LBB0_4:                                ;   in Loop: Header=BB0_5 Depth=1
	s_load_dwordx2 s[46:47], s[36:37], 0x0
	s_load_dwordx2 s[48:49], s[34:35], 0x0
	s_mul_i32 s29, s42, s29
	s_mul_hi_u32 s33, s42, s28
	s_mul_i32 s41, s43, s28
	s_mul_i32 s43, s44, s43
	s_mul_hi_u32 s50, s44, s42
	s_mul_i32 s51, s45, s42
	s_add_i32 s29, s33, s29
	s_add_i32 s33, s50, s43
	s_mul_i32 s52, s44, s42
	s_add_i32 s29, s29, s41
	s_add_i32 s33, s33, s51
	s_sub_u32 s20, s20, s52
	s_subb_u32 s21, s21, s33
	s_mul_i32 s28, s42, s28
	s_waitcnt lgkmcnt(0)
	s_mul_i32 s33, s46, s21
	s_mul_hi_u32 s41, s46, s20
	s_mul_i32 s43, s46, s20
	s_mul_i32 s21, s48, s21
	s_mul_hi_u32 s46, s48, s20
	s_mul_i32 s42, s47, s20
	s_add_i32 s33, s41, s33
	s_add_i32 s21, s46, s21
	s_mul_i32 s41, s49, s20
	s_add_i32 s33, s33, s42
	s_add_i32 s21, s21, s41
	v_add_co_u32 v1, vcc_lo, s43, v1
	s_add_u32 s38, s38, 1
	s_mul_i32 s20, s48, s20
	s_addc_u32 s39, s39, 0
	v_add_co_ci_u32_e32 v2, vcc_lo, s33, v2, vcc_lo
	v_add_co_u32 v29, vcc_lo, s20, v29
	v_cmp_ge_u64_e64 s20, s[38:39], s[30:31]
	s_add_u32 s34, s34, 8
	s_addc_u32 s35, s35, 0
	v_add_co_ci_u32_e32 v30, vcc_lo, s21, v30, vcc_lo
	s_add_u32 s36, s36, 8
	s_addc_u32 s37, s37, 0
	s_add_u32 s0, s0, 8
	s_addc_u32 s1, s1, 0
	s_and_b32 vcc_lo, exec_lo, s20
	s_mov_b64 s[20:21], s[44:45]
	s_cbranch_vccnz .LBB0_9
.LBB0_5:                                ; =>This Inner Loop Header: Depth=1
	s_load_dwordx2 s[42:43], s[0:1], 0x0
	s_mov_b32 s33, -1
	s_waitcnt lgkmcnt(0)
	s_or_b64 s[44:45], s[20:21], s[42:43]
	s_mov_b32 s41, s45
                                        ; implicit-def: $sgpr44_sgpr45
	s_cmp_lg_u64 s[40:41], 0
	s_cbranch_scc0 .LBB0_7
; %bb.6:                                ;   in Loop: Header=BB0_5 Depth=1
	v_cvt_f32_u32_e32 v3, s42
	v_cvt_f32_u32_e32 v4, s43
	s_sub_u32 s44, 0, s42
	s_subb_u32 s45, 0, s43
	v_fmac_f32_e32 v3, 0x4f800000, v4
	v_rcp_f32_e32 v3, v3
	v_mul_f32_e32 v3, 0x5f7ffffc, v3
	v_mul_f32_e32 v4, 0x2f800000, v3
	v_trunc_f32_e32 v4, v4
	v_fmac_f32_e32 v3, 0xcf800000, v4
	v_cvt_u32_f32_e32 v4, v4
	v_cvt_u32_f32_e32 v3, v3
	v_readfirstlane_b32 s33, v4
	v_readfirstlane_b32 s41, v3
	s_mul_i32 s46, s44, s33
	s_mul_hi_u32 s48, s44, s41
	s_mul_i32 s47, s45, s41
	s_add_i32 s46, s48, s46
	s_mul_i32 s49, s44, s41
	s_add_i32 s46, s46, s47
	s_mul_hi_u32 s48, s41, s49
	s_mul_hi_u32 s50, s33, s49
	s_mul_i32 s47, s33, s49
	s_mul_hi_u32 s49, s41, s46
	s_mul_i32 s41, s41, s46
	s_mul_hi_u32 s51, s33, s46
	s_add_u32 s41, s48, s41
	s_addc_u32 s48, 0, s49
	s_add_u32 s41, s41, s47
	s_mul_i32 s46, s33, s46
	s_addc_u32 s41, s48, s50
	s_addc_u32 s47, s51, 0
	s_add_u32 s41, s41, s46
	s_addc_u32 s46, 0, s47
	v_add_co_u32 v3, s41, v3, s41
	s_cmp_lg_u32 s41, 0
	s_addc_u32 s33, s33, s46
	v_readfirstlane_b32 s41, v3
	s_mul_i32 s46, s44, s33
	s_mul_hi_u32 s47, s44, s41
	s_mul_i32 s45, s45, s41
	s_add_i32 s46, s47, s46
	s_mul_i32 s44, s44, s41
	s_add_i32 s46, s46, s45
	s_mul_hi_u32 s47, s33, s44
	s_mul_i32 s48, s33, s44
	s_mul_hi_u32 s44, s41, s44
	s_mul_hi_u32 s49, s41, s46
	s_mul_i32 s41, s41, s46
	s_mul_hi_u32 s45, s33, s46
	s_add_u32 s41, s44, s41
	s_addc_u32 s44, 0, s49
	s_add_u32 s41, s41, s48
	s_mul_i32 s46, s33, s46
	s_addc_u32 s41, s44, s47
	s_addc_u32 s44, s45, 0
	s_add_u32 s41, s41, s46
	s_addc_u32 s44, 0, s44
	v_add_co_u32 v3, s41, v3, s41
	s_cmp_lg_u32 s41, 0
	s_addc_u32 s33, s33, s44
	v_readfirstlane_b32 s41, v3
	s_mul_i32 s45, s20, s33
	s_mul_hi_u32 s44, s20, s33
	s_mul_hi_u32 s46, s21, s33
	s_mul_i32 s33, s21, s33
	s_mul_hi_u32 s47, s20, s41
	s_mul_hi_u32 s48, s21, s41
	s_mul_i32 s41, s21, s41
	s_add_u32 s45, s47, s45
	s_addc_u32 s44, 0, s44
	s_add_u32 s41, s45, s41
	s_addc_u32 s41, s44, s48
	s_addc_u32 s44, s46, 0
	s_add_u32 s41, s41, s33
	s_addc_u32 s44, 0, s44
	s_mul_hi_u32 s33, s42, s41
	s_mul_i32 s46, s42, s44
	s_mul_i32 s47, s42, s41
	s_add_i32 s33, s33, s46
	v_sub_co_u32 v3, s46, s20, s47
	s_mul_i32 s45, s43, s41
	s_add_i32 s33, s33, s45
	v_sub_co_u32 v4, s47, v3, s42
	s_sub_i32 s45, s21, s33
	s_cmp_lg_u32 s46, 0
	s_subb_u32 s45, s45, s43
	s_cmp_lg_u32 s47, 0
	v_readfirstlane_b32 s47, v4
	s_subb_u32 s45, s45, 0
	s_cmp_ge_u32 s45, s43
	s_cselect_b32 s48, -1, 0
	s_cmp_ge_u32 s47, s42
	s_cselect_b32 s47, -1, 0
	s_cmp_eq_u32 s45, s43
	s_cselect_b32 s45, s47, s48
	s_add_u32 s47, s41, 1
	s_addc_u32 s48, s44, 0
	s_add_u32 s49, s41, 2
	s_addc_u32 s50, s44, 0
	s_cmp_lg_u32 s45, 0
	s_cselect_b32 s47, s49, s47
	s_cselect_b32 s45, s50, s48
	s_cmp_lg_u32 s46, 0
	v_readfirstlane_b32 s46, v3
	s_subb_u32 s33, s21, s33
	s_cmp_ge_u32 s33, s43
	s_cselect_b32 s48, -1, 0
	s_cmp_ge_u32 s46, s42
	s_cselect_b32 s46, -1, 0
	s_cmp_eq_u32 s33, s43
	s_cselect_b32 s33, s46, s48
	s_cmp_lg_u32 s33, 0
	s_mov_b32 s33, 0
	s_cselect_b32 s45, s45, s44
	s_cselect_b32 s44, s47, s41
.LBB0_7:                                ;   in Loop: Header=BB0_5 Depth=1
	s_andn2_b32 vcc_lo, exec_lo, s33
	s_cbranch_vccnz .LBB0_4
; %bb.8:                                ;   in Loop: Header=BB0_5 Depth=1
	v_cvt_f32_u32_e32 v3, s42
	s_sub_i32 s41, 0, s42
	v_rcp_iflag_f32_e32 v3, v3
	v_mul_f32_e32 v3, 0x4f7ffffe, v3
	v_cvt_u32_f32_e32 v3, v3
	v_readfirstlane_b32 s33, v3
	s_mul_i32 s41, s41, s33
	s_mul_hi_u32 s41, s33, s41
	s_add_i32 s33, s33, s41
	s_mul_hi_u32 s33, s20, s33
	s_mul_i32 s41, s33, s42
	s_add_i32 s44, s33, 1
	s_sub_i32 s41, s20, s41
	s_sub_i32 s45, s41, s42
	s_cmp_ge_u32 s41, s42
	s_cselect_b32 s33, s44, s33
	s_cselect_b32 s41, s45, s41
	s_add_i32 s44, s33, 1
	s_cmp_ge_u32 s41, s42
	s_mov_b32 s45, s40
	s_cselect_b32 s44, s44, s33
	s_branch .LBB0_4
.LBB0_9:
	v_cmp_lt_u64_e64 s0, s[6:7], s[28:29]
	s_mov_b64 s[20:21], 0
	s_and_b32 vcc_lo, exec_lo, s0
	s_cbranch_vccnz .LBB0_11
; %bb.10:
	v_cvt_f32_u32_e32 v3, s28
	s_sub_i32 s1, 0, s28
	v_rcp_iflag_f32_e32 v3, v3
	v_mul_f32_e32 v3, 0x4f7ffffe, v3
	v_cvt_u32_f32_e32 v3, v3
	v_readfirstlane_b32 s0, v3
	s_mul_i32 s1, s1, s0
	s_mul_hi_u32 s1, s0, s1
	s_add_i32 s0, s0, s1
	s_mul_hi_u32 s0, s6, s0
	s_mul_i32 s1, s0, s28
	s_sub_i32 s1, s6, s1
	s_add_i32 s6, s0, 1
	s_sub_i32 s7, s1, s28
	s_cmp_ge_u32 s1, s28
	s_cselect_b32 s0, s6, s0
	s_cselect_b32 s1, s7, s1
	s_add_i32 s6, s0, 1
	s_cmp_ge_u32 s1, s28
	s_cselect_b32 s20, s6, s0
.LBB0_11:
	s_lshl_b64 s[0:1], s[30:31], 3
	v_and_b32_e32 v33, 7, v0
	s_add_u32 s2, s2, s0
	s_addc_u32 s3, s3, s1
	v_lshrrev_b32_e32 v34, 3, v0
	s_load_dwordx2 s[2:3], s[2:3], 0x0
                                        ; implicit-def: $vgpr11_vgpr12
                                        ; implicit-def: $vgpr15_vgpr16
                                        ; implicit-def: $vgpr3_vgpr4
                                        ; implicit-def: $vgpr7_vgpr8
                                        ; implicit-def: $vgpr19_vgpr20
	s_waitcnt lgkmcnt(0)
	s_mul_i32 s3, s3, s20
	s_mul_hi_u32 s6, s2, s20
	s_mul_i32 s7, s2, s20
	s_add_i32 s6, s6, s3
	s_add_u32 s2, s26, s0
	v_add_co_u32 v21, vcc_lo, s7, v1
	s_addc_u32 s3, s27, s1
	v_add_co_ci_u32_e32 v22, vcc_lo, s6, v2, vcc_lo
	s_add_u32 s6, s4, 8
	s_addc_u32 s7, s5, 0
	v_cmp_gt_u32_e64 s0, 0xa0, v0
	v_cmp_le_u64_e64 s1, s[6:7], s[22:23]
	v_cmp_gt_u64_e64 s6, s[6:7], s[22:23]
	s_and_b32 s21, s0, s1
	s_and_saveexec_b32 s7, s21
	s_cbranch_execz .LBB0_13
; %bb.12:
	v_mad_u64_u32 v[1:2], null, s18, v33, 0
	v_mad_u64_u32 v[3:4], null, s16, v34, 0
	v_lshlrev_b64 v[5:6], 4, v[21:22]
	v_add_nc_u32_e32 v13, 20, v34
	v_add_nc_u32_e32 v14, 40, v34
	;; [unrolled: 1-line block ×4, first 2 shown]
	v_mad_u64_u32 v[9:10], null, s19, v33, v[2:3]
	v_mad_u64_u32 v[7:8], null, s16, v13, 0
	;; [unrolled: 1-line block ×4, first 2 shown]
	v_mov_b32_e32 v2, v9
	v_add_co_u32 v16, vcc_lo, s12, v5
	v_add_co_ci_u32_e32 v17, vcc_lo, s13, v6, vcc_lo
	v_mad_u64_u32 v[5:6], null, s17, v13, v[8:9]
	v_lshlrev_b64 v[1:2], 4, v[1:2]
	v_mov_b32_e32 v6, v12
	v_mov_b32_e32 v4, v10
	v_mad_u64_u32 v[9:10], null, s16, v15, 0
	v_mad_u64_u32 v[12:13], null, s17, v14, v[6:7]
	;; [unrolled: 1-line block ×3, first 2 shown]
	v_add_co_u32 v16, vcc_lo, v16, v1
	v_add_co_ci_u32_e32 v17, vcc_lo, v17, v2, vcc_lo
	v_lshlrev_b64 v[2:3], 4, v[3:4]
	v_mov_b32_e32 v1, v10
	v_mov_b32_e32 v8, v5
	v_lshlrev_b64 v[11:12], 4, v[11:12]
	v_mad_u64_u32 v[4:5], null, s17, v15, v[1:2]
	v_mov_b32_e32 v1, v14
	v_add_co_u32 v2, vcc_lo, v16, v2
	v_lshlrev_b64 v[5:6], 4, v[7:8]
	v_add_co_ci_u32_e32 v3, vcc_lo, v17, v3, vcc_lo
	v_mad_u64_u32 v[7:8], null, s17, v18, v[1:2]
	v_mov_b32_e32 v10, v4
	v_add_co_u32 v4, vcc_lo, v16, v5
	v_add_co_ci_u32_e32 v5, vcc_lo, v17, v6, vcc_lo
	v_lshlrev_b64 v[8:9], 4, v[9:10]
	v_mov_b32_e32 v14, v7
	v_add_co_u32 v6, vcc_lo, v16, v11
	v_add_co_ci_u32_e32 v7, vcc_lo, v17, v12, vcc_lo
	v_lshlrev_b64 v[10:11], 4, v[13:14]
	v_add_co_u32 v23, vcc_lo, v16, v8
	v_add_co_ci_u32_e32 v24, vcc_lo, v17, v9, vcc_lo
	v_add_co_u32 v25, vcc_lo, v16, v10
	v_add_co_ci_u32_e32 v26, vcc_lo, v17, v11, vcc_lo
	s_clause 0x4
	global_load_dwordx4 v[17:20], v[2:3], off
	global_load_dwordx4 v[9:12], v[4:5], off
	;; [unrolled: 1-line block ×5, first 2 shown]
.LBB0_13:
	s_or_b32 exec_lo, exec_lo, s7
	s_load_dwordx2 s[2:3], s[2:3], 0x0
	v_or_b32_e32 v31, s4, v33
	s_andn2_b32 vcc_lo, exec_lo, s6
	s_cbranch_vccnz .LBB0_17
; %bb.14:
	v_mov_b32_e32 v32, s5
	v_cmp_gt_u64_e32 vcc_lo, s[22:23], v[31:32]
	s_and_b32 s6, s0, vcc_lo
	s_and_saveexec_b32 s4, s6
	s_cbranch_execz .LBB0_16
; %bb.15:
	s_waitcnt vmcnt(0)
	v_mad_u64_u32 v[1:2], null, s18, v33, 0
	v_mad_u64_u32 v[3:4], null, s16, v34, 0
	v_lshlrev_b64 v[5:6], 4, v[21:22]
	v_add_nc_u32_e32 v13, 20, v34
	v_add_nc_u32_e32 v14, 40, v34
	;; [unrolled: 1-line block ×4, first 2 shown]
	v_mad_u64_u32 v[9:10], null, s19, v33, v[2:3]
	v_mad_u64_u32 v[7:8], null, s16, v13, 0
	;; [unrolled: 1-line block ×4, first 2 shown]
	v_mov_b32_e32 v2, v9
	v_add_co_u32 v16, vcc_lo, s12, v5
	v_add_co_ci_u32_e32 v17, vcc_lo, s13, v6, vcc_lo
	v_mad_u64_u32 v[5:6], null, s17, v13, v[8:9]
	v_lshlrev_b64 v[1:2], 4, v[1:2]
	v_mov_b32_e32 v6, v12
	v_mov_b32_e32 v4, v10
	v_mad_u64_u32 v[9:10], null, s16, v15, 0
	v_mad_u64_u32 v[12:13], null, s17, v14, v[6:7]
	;; [unrolled: 1-line block ×3, first 2 shown]
	v_add_co_u32 v16, vcc_lo, v16, v1
	v_add_co_ci_u32_e32 v17, vcc_lo, v17, v2, vcc_lo
	v_lshlrev_b64 v[2:3], 4, v[3:4]
	v_mov_b32_e32 v1, v10
	v_mov_b32_e32 v8, v5
	v_lshlrev_b64 v[11:12], 4, v[11:12]
	v_mad_u64_u32 v[4:5], null, s17, v15, v[1:2]
	v_mov_b32_e32 v1, v14
	v_add_co_u32 v2, vcc_lo, v16, v2
	v_lshlrev_b64 v[5:6], 4, v[7:8]
	v_add_co_ci_u32_e32 v3, vcc_lo, v17, v3, vcc_lo
	v_mad_u64_u32 v[7:8], null, s17, v18, v[1:2]
	v_mov_b32_e32 v10, v4
	v_add_co_u32 v4, vcc_lo, v16, v5
	v_add_co_ci_u32_e32 v5, vcc_lo, v17, v6, vcc_lo
	v_lshlrev_b64 v[8:9], 4, v[9:10]
	v_mov_b32_e32 v14, v7
	v_add_co_u32 v6, vcc_lo, v16, v11
	v_add_co_ci_u32_e32 v7, vcc_lo, v17, v12, vcc_lo
	v_lshlrev_b64 v[10:11], 4, v[13:14]
	v_add_co_u32 v21, vcc_lo, v16, v8
	v_add_co_ci_u32_e32 v22, vcc_lo, v17, v9, vcc_lo
	v_add_co_u32 v23, vcc_lo, v16, v10
	v_add_co_ci_u32_e32 v24, vcc_lo, v17, v11, vcc_lo
	s_clause 0x4
	global_load_dwordx4 v[17:20], v[2:3], off
	global_load_dwordx4 v[9:12], v[4:5], off
	;; [unrolled: 1-line block ×5, first 2 shown]
.LBB0_16:
	s_or_b32 exec_lo, exec_lo, s4
.LBB0_17:
	s_waitcnt vmcnt(1)
	v_add_f64 v[21:22], v[13:14], v[5:6]
	s_waitcnt vmcnt(0)
	v_add_f64 v[23:24], v[9:10], v[1:2]
	v_add_f64 v[25:26], v[9:10], v[17:18]
	v_add_f64 v[27:28], v[11:12], -v[3:4]
	v_add_f64 v[35:36], v[15:16], -v[7:8]
	s_mov_b32 s6, 0x134454ff
	s_mov_b32 s7, 0x3fee6f0e
	;; [unrolled: 1-line block ×4, first 2 shown]
	v_add_f64 v[37:38], v[1:2], -v[5:6]
	v_add_f64 v[39:40], v[13:14], -v[9:10]
	;; [unrolled: 1-line block ×3, first 2 shown]
	v_lshlrev_b32_e32 v32, 3, v33
	v_fma_f64 v[21:22], v[21:22], -0.5, v[17:18]
	v_fma_f64 v[17:18], v[23:24], -0.5, v[17:18]
	v_add_f64 v[23:24], v[9:10], -v[13:14]
	v_add_f64 v[25:26], v[13:14], v[25:26]
	v_add_f64 v[39:40], v[39:40], v[41:42]
	v_fma_f64 v[43:44], v[27:28], s[6:7], v[21:22]
	v_fma_f64 v[21:22], v[27:28], s[12:13], v[21:22]
	v_fma_f64 v[45:46], v[35:36], s[12:13], v[17:18]
	v_fma_f64 v[17:18], v[35:36], s[6:7], v[17:18]
	s_mov_b32 s6, 0x4755a5e
	s_mov_b32 s7, 0x3fe2cf23
	;; [unrolled: 1-line block ×4, first 2 shown]
	v_add_f64 v[37:38], v[23:24], v[37:38]
	v_add_f64 v[23:24], v[5:6], v[25:26]
	v_fma_f64 v[25:26], v[35:36], s[6:7], v[43:44]
	v_fma_f64 v[35:36], v[35:36], s[12:13], v[21:22]
	;; [unrolled: 1-line block ×4, first 2 shown]
	s_mov_b32 s6, 0x372fe950
	s_mov_b32 s7, 0x3fd3c6ef
	v_add_f64 v[21:22], v[1:2], v[23:24]
	v_fma_f64 v[23:24], v[37:38], s[6:7], v[25:26]
	v_fma_f64 v[17:18], v[37:38], s[6:7], v[35:36]
	;; [unrolled: 1-line block ×4, first 2 shown]
	v_mul_u32_u24_e32 v36, 0x140, v34
	s_and_saveexec_b32 s4, s0
	s_cbranch_execz .LBB0_19
; %bb.18:
	v_add3_u32 v35, 0, v36, v32
	ds_write2_b64 v35, v[21:22], v[23:24] offset1:8
	ds_write2_b64 v35, v[25:26], v[27:28] offset0:16 offset1:24
	ds_write_b64 v35, v[17:18] offset:256
.LBB0_19:
	s_or_b32 exec_lo, exec_lo, s4
	v_lshlrev_b32_e32 v35, 6, v34
	s_waitcnt lgkmcnt(0)
	s_barrier
	buffer_gl0_inv
	s_and_saveexec_b32 s4, s0
	s_cbranch_execz .LBB0_21
; %bb.20:
	v_add3_u32 v17, 0, v35, v32
	v_add_nc_u32_e32 v18, 0x800, v17
	ds_read2_b64 v[21:24], v17 offset1:160
	ds_read2_b64 v[25:28], v18 offset0:64 offset1:224
	ds_read_b64 v[17:18], v17 offset:5120
.LBB0_21:
	s_or_b32 exec_lo, exec_lo, s4
	v_add_f64 v[37:38], v[15:16], v[7:8]
	v_add_f64 v[39:40], v[11:12], v[3:4]
	;; [unrolled: 1-line block ×3, first 2 shown]
	v_add_f64 v[1:2], v[9:10], -v[1:2]
	v_add_f64 v[5:6], v[13:14], -v[5:6]
	s_mov_b32 s6, 0x134454ff
	s_mov_b32 s7, 0xbfee6f0e
	;; [unrolled: 1-line block ×4, first 2 shown]
	s_waitcnt lgkmcnt(0)
	s_barrier
	buffer_gl0_inv
	v_fma_f64 v[9:10], v[37:38], -0.5, v[19:20]
	v_fma_f64 v[13:14], v[39:40], -0.5, v[19:20]
	v_add_f64 v[19:20], v[11:12], -v[15:16]
	v_add_f64 v[37:38], v[3:4], -v[7:8]
	;; [unrolled: 1-line block ×4, first 2 shown]
	v_add_f64 v[15:16], v[15:16], v[41:42]
	v_fma_f64 v[41:42], v[1:2], s[6:7], v[9:10]
	v_fma_f64 v[9:10], v[1:2], s[12:13], v[9:10]
	;; [unrolled: 1-line block ×4, first 2 shown]
	s_mov_b32 s6, 0x4755a5e
	s_mov_b32 s7, 0xbfe2cf23
	;; [unrolled: 1-line block ×4, first 2 shown]
	v_add_f64 v[19:20], v[19:20], v[37:38]
	v_add_f64 v[11:12], v[11:12], v[39:40]
	v_add_f64 v[7:8], v[7:8], v[15:16]
	v_fma_f64 v[15:16], v[5:6], s[6:7], v[41:42]
	v_fma_f64 v[5:6], v[5:6], s[12:13], v[9:10]
	;; [unrolled: 1-line block ×4, first 2 shown]
	s_mov_b32 s6, 0x372fe950
	s_mov_b32 s7, 0x3fd3c6ef
	v_add_f64 v[1:2], v[3:4], v[7:8]
	v_fma_f64 v[3:4], v[19:20], s[6:7], v[15:16]
	v_fma_f64 v[9:10], v[19:20], s[6:7], v[5:6]
	;; [unrolled: 1-line block ×4, first 2 shown]
	s_and_saveexec_b32 s4, s0
	s_cbranch_execz .LBB0_23
; %bb.22:
	v_add3_u32 v11, 0, v36, v32
	ds_write2_b64 v11, v[1:2], v[3:4] offset1:8
	ds_write2_b64 v11, v[5:6], v[7:8] offset0:16 offset1:24
	ds_write_b64 v11, v[9:10] offset:256
.LBB0_23:
	s_or_b32 exec_lo, exec_lo, s4
	s_waitcnt lgkmcnt(0)
	s_barrier
	buffer_gl0_inv
	s_and_saveexec_b32 s4, s0
	s_cbranch_execz .LBB0_25
; %bb.24:
	v_add3_u32 v9, 0, v35, v32
	v_add_nc_u32_e32 v5, 0x800, v9
	ds_read2_b64 v[1:4], v9 offset1:160
	ds_read2_b64 v[5:8], v5 offset0:64 offset1:224
	ds_read_b64 v[9:10], v9 offset:5120
.LBB0_25:
	s_or_b32 exec_lo, exec_lo, s4
	v_mul_lo_u16 v11, v34, 52
	v_lshrrev_b16 v54, 8, v11
	v_mul_lo_u16 v11, v54, 5
	v_sub_nc_u16 v55, v34, v11
	v_lshlrev_b16 v11, 2, v55
	v_and_b32_e32 v11, 0xfc, v11
	v_lshlrev_b32_e32 v15, 4, v11
	s_clause 0x3
	global_load_dwordx4 v[11:14], v15, s[24:25]
	global_load_dwordx4 v[36:39], v15, s[24:25] offset:16
	global_load_dwordx4 v[40:43], v15, s[24:25] offset:32
	;; [unrolled: 1-line block ×3, first 2 shown]
	s_waitcnt vmcnt(0) lgkmcnt(0)
	s_barrier
	buffer_gl0_inv
	v_mul_f64 v[15:16], v[3:4], v[13:14]
	v_mul_f64 v[13:14], v[23:24], v[13:14]
	;; [unrolled: 1-line block ×8, first 2 shown]
	v_fma_f64 v[23:24], v[23:24], v[11:12], -v[15:16]
	v_fma_f64 v[19:20], v[3:4], v[11:12], v[13:14]
	v_fma_f64 v[25:26], v[25:26], v[36:37], -v[48:49]
	v_fma_f64 v[15:16], v[5:6], v[36:37], v[38:39]
	v_fma_f64 v[27:28], v[27:28], v[40:41], -v[50:51]
	v_fma_f64 v[13:14], v[7:8], v[40:41], v[42:43]
	v_fma_f64 v[17:18], v[17:18], v[44:45], -v[52:53]
	v_fma_f64 v[11:12], v[9:10], v[44:45], v[46:47]
	v_mad_u16 v36, v54, 25, v55
	s_and_saveexec_b32 s4, s0
	s_cbranch_execz .LBB0_27
; %bb.26:
	v_add_f64 v[5:6], v[25:26], v[27:28]
	v_add_f64 v[3:4], v[23:24], v[17:18]
	v_add_f64 v[9:10], v[19:20], -v[11:12]
	v_add_f64 v[37:38], v[21:22], v[23:24]
	v_add_f64 v[7:8], v[15:16], -v[13:14]
	s_mov_b32 s6, 0x134454ff
	s_mov_b32 s7, 0x3fee6f0e
	;; [unrolled: 1-line block ×4, first 2 shown]
	v_add_f64 v[39:40], v[27:28], -v[17:18]
	v_add_f64 v[41:42], v[23:24], -v[25:26]
	;; [unrolled: 1-line block ×3, first 2 shown]
	v_fma_f64 v[5:6], v[5:6], -0.5, v[21:22]
	v_fma_f64 v[3:4], v[3:4], -0.5, v[21:22]
	v_add_f64 v[21:22], v[25:26], -v[23:24]
	v_add_f64 v[37:38], v[37:38], v[25:26]
	v_fma_f64 v[47:48], v[9:10], s[6:7], v[5:6]
	v_fma_f64 v[45:46], v[7:8], s[6:7], v[3:4]
	v_fma_f64 v[3:4], v[7:8], s[12:13], v[3:4]
	v_fma_f64 v[5:6], v[9:10], s[12:13], v[5:6]
	s_mov_b32 s6, 0x4755a5e
	s_mov_b32 s7, 0xbfe2cf23
	;; [unrolled: 1-line block ×4, first 2 shown]
	v_add_f64 v[21:22], v[21:22], v[39:40]
	v_add_f64 v[39:40], v[41:42], v[43:44]
	;; [unrolled: 1-line block ×3, first 2 shown]
	v_fma_f64 v[43:44], v[7:8], s[12:13], v[47:48]
	v_fma_f64 v[41:42], v[9:10], s[6:7], v[45:46]
	;; [unrolled: 1-line block ×4, first 2 shown]
	s_mov_b32 s6, 0x372fe950
	s_mov_b32 s7, 0x3fd3c6ef
	v_add_f64 v[7:8], v[37:38], v[17:18]
	v_fma_f64 v[37:38], v[39:40], s[6:7], v[43:44]
	v_fma_f64 v[9:10], v[21:22], s[6:7], v[41:42]
	;; [unrolled: 1-line block ×4, first 2 shown]
	v_mov_b32_e32 v21, 6
	v_lshlrev_b32_sdwa v21, v21, v36 dst_sel:DWORD dst_unused:UNUSED_PAD src0_sel:DWORD src1_sel:BYTE_0
	v_add3_u32 v21, 0, v21, v32
	ds_write2_b64 v21, v[7:8], v[37:38] offset1:40
	ds_write2_b64 v21, v[3:4], v[9:10] offset0:80 offset1:120
	ds_write_b64 v21, v[5:6] offset:1280
.LBB0_27:
	s_or_b32 exec_lo, exec_lo, s4
	v_add3_u32 v21, 0, v35, v32
	s_waitcnt lgkmcnt(0)
	s_barrier
	buffer_gl0_inv
	v_add_nc_u32_e32 v7, 0xc00, v21
	ds_read2_b64 v[3:6], v21 offset1:200
	ds_read2_b64 v[7:10], v7 offset0:16 offset1:216
	s_waitcnt lgkmcnt(0)
	s_barrier
	buffer_gl0_inv
	s_and_saveexec_b32 s4, s0
	s_cbranch_execz .LBB0_29
; %bb.28:
	v_add_f64 v[37:38], v[15:16], v[13:14]
	v_add_f64 v[39:40], v[19:20], v[11:12]
	;; [unrolled: 1-line block ×3, first 2 shown]
	v_add_f64 v[17:18], v[23:24], -v[17:18]
	v_add_f64 v[22:23], v[25:26], -v[27:28]
	s_mov_b32 s6, 0x134454ff
	s_mov_b32 s7, 0xbfee6f0e
	s_mov_b32 s13, 0x3fee6f0e
	s_mov_b32 s12, s6
	v_add_f64 v[26:27], v[19:20], -v[15:16]
	v_add_f64 v[19:20], v[15:16], -v[19:20]
	v_fma_f64 v[24:25], v[37:38], -0.5, v[1:2]
	v_fma_f64 v[1:2], v[39:40], -0.5, v[1:2]
	v_add_f64 v[37:38], v[11:12], -v[13:14]
	v_add_f64 v[15:16], v[41:42], v[15:16]
	v_add_f64 v[39:40], v[13:14], -v[11:12]
	v_fma_f64 v[41:42], v[17:18], s[6:7], v[24:25]
	v_fma_f64 v[43:44], v[22:23], s[12:13], v[1:2]
	;; [unrolled: 1-line block ×4, first 2 shown]
	s_mov_b32 s6, 0x4755a5e
	s_mov_b32 s7, 0xbfe2cf23
	;; [unrolled: 1-line block ×4, first 2 shown]
	v_add_f64 v[26:27], v[26:27], v[37:38]
	v_add_f64 v[13:14], v[15:16], v[13:14]
	v_add_f64 v[19:20], v[19:20], v[39:40]
	v_fma_f64 v[15:16], v[22:23], s[6:7], v[41:42]
	v_fma_f64 v[37:38], v[17:18], s[6:7], v[43:44]
	;; [unrolled: 1-line block ×4, first 2 shown]
	s_mov_b32 s6, 0x372fe950
	s_mov_b32 s7, 0x3fd3c6ef
	v_add_f64 v[11:12], v[13:14], v[11:12]
	v_fma_f64 v[13:14], v[26:27], s[6:7], v[15:16]
	v_fma_f64 v[15:16], v[19:20], s[6:7], v[37:38]
	v_fma_f64 v[1:2], v[19:20], s[6:7], v[1:2]
	v_fma_f64 v[17:18], v[26:27], s[6:7], v[17:18]
	v_mov_b32_e32 v19, 6
	v_lshlrev_b32_sdwa v19, v19, v36 dst_sel:DWORD dst_unused:UNUSED_PAD src0_sel:DWORD src1_sel:BYTE_0
	v_add3_u32 v19, 0, v19, v32
	ds_write2_b64 v19, v[11:12], v[13:14] offset1:40
	ds_write2_b64 v19, v[15:16], v[1:2] offset0:80 offset1:120
	ds_write_b64 v19, v[17:18] offset:1280
.LBB0_29:
	s_or_b32 exec_lo, exec_lo, s4
	v_mov_b32_e32 v32, s5
	s_waitcnt lgkmcnt(0)
	s_barrier
	buffer_gl0_inv
	v_cmp_gt_u64_e32 vcc_lo, s[22:23], v[31:32]
	s_or_b32 s0, s1, vcc_lo
	s_and_saveexec_b32 s1, s0
	s_cbranch_execz .LBB0_31
; %bb.30:
	v_mul_lo_u16 v1, v34, 21
	v_mov_b32_e32 v2, 3
	v_mul_u32_u24_e32 v0, 0x148, v0
	s_mul_i32 s1, s3, s20
	s_mul_hi_u32 s3, s2, s20
	v_lshrrev_b16 v1, 9, v1
	s_mul_i32 s0, s2, s20
	s_add_i32 s1, s3, s1
	s_lshl_b64 s[0:1], s[0:1], 4
	v_mul_lo_u16 v1, v1, 25
	s_add_u32 s0, s14, s0
	s_addc_u32 s1, s15, s1
	v_sub_nc_u16 v28, v34, v1
	v_mul_u32_u24_sdwa v1, v28, v2 dst_sel:DWORD dst_unused:UNUSED_PAD src0_sel:BYTE_0 src1_sel:DWORD
	v_lshlrev_b32_e32 v1, 4, v1
	s_clause 0x2
	global_load_dwordx4 v[11:14], v1, s[24:25] offset:336
	global_load_dwordx4 v[15:18], v1, s[24:25] offset:320
	;; [unrolled: 1-line block ×3, first 2 shown]
	v_add_nc_u32_e32 v1, 0xc00, v21
	ds_read2_b64 v[34:37], v21 offset1:200
	ds_read2_b64 v[38:41], v1 offset0:16 offset1:216
	s_waitcnt vmcnt(2)
	v_mul_f64 v[1:2], v[7:8], v[13:14]
	s_waitcnt vmcnt(1) lgkmcnt(1)
	v_mul_f64 v[19:20], v[36:37], v[17:18]
	s_waitcnt vmcnt(0)
	v_mul_f64 v[26:27], v[9:10], v[24:25]
	s_waitcnt lgkmcnt(0)
	v_mul_f64 v[24:25], v[40:41], v[24:25]
	v_mul_f64 v[17:18], v[5:6], v[17:18]
	;; [unrolled: 1-line block ×3, first 2 shown]
	v_fma_f64 v[1:2], v[38:39], v[11:12], v[1:2]
	v_fma_f64 v[5:6], v[5:6], v[15:16], -v[19:20]
	v_lshrrev_b32_e32 v19, 16, v0
	v_fma_f64 v[9:10], v[9:10], v[22:23], -v[24:25]
	v_fma_f64 v[15:16], v[36:37], v[15:16], v[17:18]
	v_fma_f64 v[17:18], v[40:41], v[22:23], v[26:27]
	v_fma_f64 v[7:8], v[7:8], v[11:12], -v[13:14]
	v_add_f64 v[11:12], v[34:35], -v[1:2]
	v_add_f64 v[1:2], v[5:6], -v[9:10]
	v_lshlrev_b64 v[9:10], 4, v[29:30]
	v_add_f64 v[13:14], v[15:16], -v[17:18]
	v_add_f64 v[17:18], v[3:4], -v[7:8]
	v_mad_u64_u32 v[7:8], null, s10, v33, 0
	v_mov_b32_e32 v0, v8
	v_mul_lo_u16 v8, 0x64, v19
	v_add_nc_u32_sdwa v32, v8, v28 dst_sel:DWORD dst_unused:UNUSED_PAD src0_sel:WORD_0 src1_sel:BYTE_0
	v_mad_u64_u32 v[19:20], null, s11, v33, v[0:1]
	v_fma_f64 v[20:21], v[34:35], 2.0, -v[11:12]
	v_fma_f64 v[15:16], v[15:16], 2.0, -v[13:14]
	;; [unrolled: 1-line block ×4, first 2 shown]
	v_add_co_u32 v34, vcc_lo, s0, v9
	v_mov_b32_e32 v8, v19
	v_add_nc_u32_e32 v19, 25, v32
	v_add_co_ci_u32_e32 v35, vcc_lo, s1, v10, vcc_lo
	v_mad_u64_u32 v[9:10], null, s8, v32, 0
	v_mad_u64_u32 v[24:25], null, s8, v19, 0
	v_add_nc_u32_e32 v33, 50, v32
	v_lshlrev_b64 v[26:27], 4, v[7:8]
	v_add_f64 v[2:3], v[11:12], v[1:2]
	v_add_nc_u32_e32 v36, 0x4b, v32
	v_add_f64 v[0:1], v[17:18], -v[13:14]
	v_mov_b32_e32 v8, v10
	v_mad_u64_u32 v[28:29], null, s8, v33, 0
	v_mad_u64_u32 v[30:31], null, s8, v36, 0
	v_add_f64 v[6:7], v[20:21], -v[15:16]
	v_add_f64 v[4:5], v[22:23], -v[4:5]
	v_mov_b32_e32 v10, v25
	v_mad_u64_u32 v[13:14], null, s9, v32, v[8:9]
	v_mov_b32_e32 v8, v29
	v_mov_b32_e32 v14, v31
	v_mad_u64_u32 v[15:16], null, s9, v19, v[10:11]
	v_mad_u64_u32 v[31:32], null, s9, v33, v[8:9]
	v_mov_b32_e32 v10, v13
	v_mad_u64_u32 v[32:33], null, s9, v36, v[14:15]
	v_add_co_u32 v33, vcc_lo, v34, v26
	v_add_co_ci_u32_e32 v34, vcc_lo, v35, v27, vcc_lo
	v_lshlrev_b64 v[26:27], 4, v[9:10]
	v_mov_b32_e32 v25, v15
	v_fma_f64 v[10:11], v[11:12], 2.0, -v[2:3]
	v_fma_f64 v[14:15], v[20:21], 2.0, -v[6:7]
	;; [unrolled: 1-line block ×4, first 2 shown]
	v_mov_b32_e32 v29, v31
	v_lshlrev_b64 v[16:17], 4, v[24:25]
	v_mov_b32_e32 v31, v32
	v_add_co_u32 v22, vcc_lo, v33, v26
	v_lshlrev_b64 v[18:19], 4, v[28:29]
	v_add_co_ci_u32_e32 v23, vcc_lo, v34, v27, vcc_lo
	v_lshlrev_b64 v[20:21], 4, v[30:31]
	v_add_co_u32 v16, vcc_lo, v33, v16
	v_add_co_ci_u32_e32 v17, vcc_lo, v34, v17, vcc_lo
	v_add_co_u32 v18, vcc_lo, v33, v18
	v_add_co_ci_u32_e32 v19, vcc_lo, v34, v19, vcc_lo
	;; [unrolled: 2-line block ×3, first 2 shown]
	global_store_dwordx4 v[22:23], v[12:15], off
	global_store_dwordx4 v[16:17], v[8:11], off
	;; [unrolled: 1-line block ×4, first 2 shown]
.LBB0_31:
	s_endpgm
	.section	.rodata,"a",@progbits
	.p2align	6, 0x0
	.amdhsa_kernel fft_rtc_fwd_len100_factors_5_5_4_wgs_200_tpt_25_halfLds_dp_op_CI_CI_sbcc_dirReg
		.amdhsa_group_segment_fixed_size 0
		.amdhsa_private_segment_fixed_size 0
		.amdhsa_kernarg_size 112
		.amdhsa_user_sgpr_count 6
		.amdhsa_user_sgpr_private_segment_buffer 1
		.amdhsa_user_sgpr_dispatch_ptr 0
		.amdhsa_user_sgpr_queue_ptr 0
		.amdhsa_user_sgpr_kernarg_segment_ptr 1
		.amdhsa_user_sgpr_dispatch_id 0
		.amdhsa_user_sgpr_flat_scratch_init 0
		.amdhsa_user_sgpr_private_segment_size 0
		.amdhsa_wavefront_size32 1
		.amdhsa_uses_dynamic_stack 0
		.amdhsa_system_sgpr_private_segment_wavefront_offset 0
		.amdhsa_system_sgpr_workgroup_id_x 1
		.amdhsa_system_sgpr_workgroup_id_y 0
		.amdhsa_system_sgpr_workgroup_id_z 0
		.amdhsa_system_sgpr_workgroup_info 0
		.amdhsa_system_vgpr_workitem_id 0
		.amdhsa_next_free_vgpr 56
		.amdhsa_next_free_sgpr 53
		.amdhsa_reserve_vcc 1
		.amdhsa_reserve_flat_scratch 0
		.amdhsa_float_round_mode_32 0
		.amdhsa_float_round_mode_16_64 0
		.amdhsa_float_denorm_mode_32 3
		.amdhsa_float_denorm_mode_16_64 3
		.amdhsa_dx10_clamp 1
		.amdhsa_ieee_mode 1
		.amdhsa_fp16_overflow 0
		.amdhsa_workgroup_processor_mode 1
		.amdhsa_memory_ordered 1
		.amdhsa_forward_progress 0
		.amdhsa_shared_vgpr_count 0
		.amdhsa_exception_fp_ieee_invalid_op 0
		.amdhsa_exception_fp_denorm_src 0
		.amdhsa_exception_fp_ieee_div_zero 0
		.amdhsa_exception_fp_ieee_overflow 0
		.amdhsa_exception_fp_ieee_underflow 0
		.amdhsa_exception_fp_ieee_inexact 0
		.amdhsa_exception_int_div_zero 0
	.end_amdhsa_kernel
	.text
.Lfunc_end0:
	.size	fft_rtc_fwd_len100_factors_5_5_4_wgs_200_tpt_25_halfLds_dp_op_CI_CI_sbcc_dirReg, .Lfunc_end0-fft_rtc_fwd_len100_factors_5_5_4_wgs_200_tpt_25_halfLds_dp_op_CI_CI_sbcc_dirReg
                                        ; -- End function
	.section	.AMDGPU.csdata,"",@progbits
; Kernel info:
; codeLenInByte = 4724
; NumSgprs: 55
; NumVgprs: 56
; ScratchSize: 0
; MemoryBound: 1
; FloatMode: 240
; IeeeMode: 1
; LDSByteSize: 0 bytes/workgroup (compile time only)
; SGPRBlocks: 6
; VGPRBlocks: 6
; NumSGPRsForWavesPerEU: 55
; NumVGPRsForWavesPerEU: 56
; Occupancy: 16
; WaveLimiterHint : 1
; COMPUTE_PGM_RSRC2:SCRATCH_EN: 0
; COMPUTE_PGM_RSRC2:USER_SGPR: 6
; COMPUTE_PGM_RSRC2:TRAP_HANDLER: 0
; COMPUTE_PGM_RSRC2:TGID_X_EN: 1
; COMPUTE_PGM_RSRC2:TGID_Y_EN: 0
; COMPUTE_PGM_RSRC2:TGID_Z_EN: 0
; COMPUTE_PGM_RSRC2:TIDIG_COMP_CNT: 0
	.text
	.p2alignl 6, 3214868480
	.fill 48, 4, 3214868480
	.type	__hip_cuid_537f82c2ffd9f5ef,@object ; @__hip_cuid_537f82c2ffd9f5ef
	.section	.bss,"aw",@nobits
	.globl	__hip_cuid_537f82c2ffd9f5ef
__hip_cuid_537f82c2ffd9f5ef:
	.byte	0                               ; 0x0
	.size	__hip_cuid_537f82c2ffd9f5ef, 1

	.ident	"AMD clang version 19.0.0git (https://github.com/RadeonOpenCompute/llvm-project roc-6.4.0 25133 c7fe45cf4b819c5991fe208aaa96edf142730f1d)"
	.section	".note.GNU-stack","",@progbits
	.addrsig
	.addrsig_sym __hip_cuid_537f82c2ffd9f5ef
	.amdgpu_metadata
---
amdhsa.kernels:
  - .args:
      - .actual_access:  read_only
        .address_space:  global
        .offset:         0
        .size:           8
        .value_kind:     global_buffer
      - .address_space:  global
        .offset:         8
        .size:           8
        .value_kind:     global_buffer
      - .offset:         16
        .size:           8
        .value_kind:     by_value
      - .actual_access:  read_only
        .address_space:  global
        .offset:         24
        .size:           8
        .value_kind:     global_buffer
      - .actual_access:  read_only
        .address_space:  global
        .offset:         32
        .size:           8
        .value_kind:     global_buffer
      - .actual_access:  read_only
        .address_space:  global
        .offset:         40
        .size:           8
        .value_kind:     global_buffer
      - .offset:         48
        .size:           8
        .value_kind:     by_value
      - .actual_access:  read_only
        .address_space:  global
        .offset:         56
        .size:           8
        .value_kind:     global_buffer
      - .actual_access:  read_only
        .address_space:  global
        .offset:         64
        .size:           8
        .value_kind:     global_buffer
      - .offset:         72
        .size:           4
        .value_kind:     by_value
      - .actual_access:  read_only
        .address_space:  global
        .offset:         80
        .size:           8
        .value_kind:     global_buffer
      - .actual_access:  read_only
        .address_space:  global
        .offset:         88
        .size:           8
        .value_kind:     global_buffer
      - .actual_access:  read_only
        .address_space:  global
        .offset:         96
        .size:           8
        .value_kind:     global_buffer
      - .actual_access:  write_only
        .address_space:  global
        .offset:         104
        .size:           8
        .value_kind:     global_buffer
    .group_segment_fixed_size: 0
    .kernarg_segment_align: 8
    .kernarg_segment_size: 112
    .language:       OpenCL C
    .language_version:
      - 2
      - 0
    .max_flat_workgroup_size: 200
    .name:           fft_rtc_fwd_len100_factors_5_5_4_wgs_200_tpt_25_halfLds_dp_op_CI_CI_sbcc_dirReg
    .private_segment_fixed_size: 0
    .sgpr_count:     55
    .sgpr_spill_count: 0
    .symbol:         fft_rtc_fwd_len100_factors_5_5_4_wgs_200_tpt_25_halfLds_dp_op_CI_CI_sbcc_dirReg.kd
    .uniform_work_group_size: 1
    .uses_dynamic_stack: false
    .vgpr_count:     56
    .vgpr_spill_count: 0
    .wavefront_size: 32
    .workgroup_processor_mode: 1
amdhsa.target:   amdgcn-amd-amdhsa--gfx1030
amdhsa.version:
  - 1
  - 2
...

	.end_amdgpu_metadata
